;; amdgpu-corpus repo=ROCm/rocFFT kind=compiled arch=gfx1030 opt=O3
	.text
	.amdgcn_target "amdgcn-amd-amdhsa--gfx1030"
	.amdhsa_code_object_version 6
	.protected	fft_rtc_fwd_len1470_factors_2_3_5_7_7_wgs_210_tpt_210_halfLds_sp_ip_CI_unitstride_sbrr_C2R_dirReg ; -- Begin function fft_rtc_fwd_len1470_factors_2_3_5_7_7_wgs_210_tpt_210_halfLds_sp_ip_CI_unitstride_sbrr_C2R_dirReg
	.globl	fft_rtc_fwd_len1470_factors_2_3_5_7_7_wgs_210_tpt_210_halfLds_sp_ip_CI_unitstride_sbrr_C2R_dirReg
	.p2align	8
	.type	fft_rtc_fwd_len1470_factors_2_3_5_7_7_wgs_210_tpt_210_halfLds_sp_ip_CI_unitstride_sbrr_C2R_dirReg,@function
fft_rtc_fwd_len1470_factors_2_3_5_7_7_wgs_210_tpt_210_halfLds_sp_ip_CI_unitstride_sbrr_C2R_dirReg: ; @fft_rtc_fwd_len1470_factors_2_3_5_7_7_wgs_210_tpt_210_halfLds_sp_ip_CI_unitstride_sbrr_C2R_dirReg
; %bb.0:
	s_clause 0x2
	s_load_dwordx4 s[8:11], s[4:5], 0x0
	s_load_dwordx2 s[2:3], s[4:5], 0x50
	s_load_dwordx2 s[12:13], s[4:5], 0x18
	v_mul_u32_u24_e32 v1, 0x139, v0
	v_mov_b32_e32 v3, 0
	v_add_nc_u32_sdwa v5, s6, v1 dst_sel:DWORD dst_unused:UNUSED_PAD src0_sel:DWORD src1_sel:WORD_1
	v_mov_b32_e32 v1, 0
	v_mov_b32_e32 v6, v3
	v_mov_b32_e32 v2, 0
	s_waitcnt lgkmcnt(0)
	v_cmp_lt_u64_e64 s0, s[10:11], 2
	s_and_b32 vcc_lo, exec_lo, s0
	s_cbranch_vccnz .LBB0_8
; %bb.1:
	s_load_dwordx2 s[0:1], s[4:5], 0x10
	v_mov_b32_e32 v1, 0
	s_add_u32 s6, s12, 8
	v_mov_b32_e32 v2, 0
	s_addc_u32 s7, s13, 0
	s_mov_b64 s[16:17], 1
	s_waitcnt lgkmcnt(0)
	s_add_u32 s14, s0, 8
	s_addc_u32 s15, s1, 0
.LBB0_2:                                ; =>This Inner Loop Header: Depth=1
	s_load_dwordx2 s[18:19], s[14:15], 0x0
                                        ; implicit-def: $vgpr7_vgpr8
	s_mov_b32 s0, exec_lo
	s_waitcnt lgkmcnt(0)
	v_or_b32_e32 v4, s19, v6
	v_cmpx_ne_u64_e32 0, v[3:4]
	s_xor_b32 s1, exec_lo, s0
	s_cbranch_execz .LBB0_4
; %bb.3:                                ;   in Loop: Header=BB0_2 Depth=1
	v_cvt_f32_u32_e32 v4, s18
	v_cvt_f32_u32_e32 v7, s19
	s_sub_u32 s0, 0, s18
	s_subb_u32 s20, 0, s19
	v_fmac_f32_e32 v4, 0x4f800000, v7
	v_rcp_f32_e32 v4, v4
	v_mul_f32_e32 v4, 0x5f7ffffc, v4
	v_mul_f32_e32 v7, 0x2f800000, v4
	v_trunc_f32_e32 v7, v7
	v_fmac_f32_e32 v4, 0xcf800000, v7
	v_cvt_u32_f32_e32 v7, v7
	v_cvt_u32_f32_e32 v4, v4
	v_mul_lo_u32 v8, s0, v7
	v_mul_hi_u32 v9, s0, v4
	v_mul_lo_u32 v10, s20, v4
	v_add_nc_u32_e32 v8, v9, v8
	v_mul_lo_u32 v9, s0, v4
	v_add_nc_u32_e32 v8, v8, v10
	v_mul_hi_u32 v10, v4, v9
	v_mul_lo_u32 v11, v4, v8
	v_mul_hi_u32 v12, v4, v8
	v_mul_hi_u32 v13, v7, v9
	v_mul_lo_u32 v9, v7, v9
	v_mul_hi_u32 v14, v7, v8
	v_mul_lo_u32 v8, v7, v8
	v_add_co_u32 v10, vcc_lo, v10, v11
	v_add_co_ci_u32_e32 v11, vcc_lo, 0, v12, vcc_lo
	v_add_co_u32 v9, vcc_lo, v10, v9
	v_add_co_ci_u32_e32 v9, vcc_lo, v11, v13, vcc_lo
	v_add_co_ci_u32_e32 v10, vcc_lo, 0, v14, vcc_lo
	v_add_co_u32 v8, vcc_lo, v9, v8
	v_add_co_ci_u32_e32 v9, vcc_lo, 0, v10, vcc_lo
	v_add_co_u32 v4, vcc_lo, v4, v8
	v_add_co_ci_u32_e32 v7, vcc_lo, v7, v9, vcc_lo
	v_mul_hi_u32 v8, s0, v4
	v_mul_lo_u32 v10, s20, v4
	v_mul_lo_u32 v9, s0, v7
	v_add_nc_u32_e32 v8, v8, v9
	v_mul_lo_u32 v9, s0, v4
	v_add_nc_u32_e32 v8, v8, v10
	v_mul_hi_u32 v10, v4, v9
	v_mul_lo_u32 v11, v4, v8
	v_mul_hi_u32 v12, v4, v8
	v_mul_hi_u32 v13, v7, v9
	v_mul_lo_u32 v9, v7, v9
	v_mul_hi_u32 v14, v7, v8
	v_mul_lo_u32 v8, v7, v8
	v_add_co_u32 v10, vcc_lo, v10, v11
	v_add_co_ci_u32_e32 v11, vcc_lo, 0, v12, vcc_lo
	v_add_co_u32 v9, vcc_lo, v10, v9
	v_add_co_ci_u32_e32 v9, vcc_lo, v11, v13, vcc_lo
	v_add_co_ci_u32_e32 v10, vcc_lo, 0, v14, vcc_lo
	v_add_co_u32 v8, vcc_lo, v9, v8
	v_add_co_ci_u32_e32 v9, vcc_lo, 0, v10, vcc_lo
	v_add_co_u32 v4, vcc_lo, v4, v8
	v_add_co_ci_u32_e32 v11, vcc_lo, v7, v9, vcc_lo
	v_mul_hi_u32 v13, v5, v4
	v_mad_u64_u32 v[9:10], null, v6, v4, 0
	v_mad_u64_u32 v[7:8], null, v5, v11, 0
	;; [unrolled: 1-line block ×3, first 2 shown]
	v_add_co_u32 v4, vcc_lo, v13, v7
	v_add_co_ci_u32_e32 v7, vcc_lo, 0, v8, vcc_lo
	v_add_co_u32 v4, vcc_lo, v4, v9
	v_add_co_ci_u32_e32 v4, vcc_lo, v7, v10, vcc_lo
	v_add_co_ci_u32_e32 v7, vcc_lo, 0, v12, vcc_lo
	v_add_co_u32 v4, vcc_lo, v4, v11
	v_add_co_ci_u32_e32 v9, vcc_lo, 0, v7, vcc_lo
	v_mul_lo_u32 v10, s19, v4
	v_mad_u64_u32 v[7:8], null, s18, v4, 0
	v_mul_lo_u32 v11, s18, v9
	v_sub_co_u32 v7, vcc_lo, v5, v7
	v_add3_u32 v8, v8, v11, v10
	v_sub_nc_u32_e32 v10, v6, v8
	v_subrev_co_ci_u32_e64 v10, s0, s19, v10, vcc_lo
	v_add_co_u32 v11, s0, v4, 2
	v_add_co_ci_u32_e64 v12, s0, 0, v9, s0
	v_sub_co_u32 v13, s0, v7, s18
	v_sub_co_ci_u32_e32 v8, vcc_lo, v6, v8, vcc_lo
	v_subrev_co_ci_u32_e64 v10, s0, 0, v10, s0
	v_cmp_le_u32_e32 vcc_lo, s18, v13
	v_cmp_eq_u32_e64 s0, s19, v8
	v_cndmask_b32_e64 v13, 0, -1, vcc_lo
	v_cmp_le_u32_e32 vcc_lo, s19, v10
	v_cndmask_b32_e64 v14, 0, -1, vcc_lo
	v_cmp_le_u32_e32 vcc_lo, s18, v7
	;; [unrolled: 2-line block ×3, first 2 shown]
	v_cndmask_b32_e64 v15, 0, -1, vcc_lo
	v_cmp_eq_u32_e32 vcc_lo, s19, v10
	v_cndmask_b32_e64 v7, v15, v7, s0
	v_cndmask_b32_e32 v10, v14, v13, vcc_lo
	v_add_co_u32 v13, vcc_lo, v4, 1
	v_add_co_ci_u32_e32 v14, vcc_lo, 0, v9, vcc_lo
	v_cmp_ne_u32_e32 vcc_lo, 0, v10
	v_cndmask_b32_e32 v8, v14, v12, vcc_lo
	v_cndmask_b32_e32 v10, v13, v11, vcc_lo
	v_cmp_ne_u32_e32 vcc_lo, 0, v7
	v_cndmask_b32_e32 v8, v9, v8, vcc_lo
	v_cndmask_b32_e32 v7, v4, v10, vcc_lo
.LBB0_4:                                ;   in Loop: Header=BB0_2 Depth=1
	s_andn2_saveexec_b32 s0, s1
	s_cbranch_execz .LBB0_6
; %bb.5:                                ;   in Loop: Header=BB0_2 Depth=1
	v_cvt_f32_u32_e32 v4, s18
	s_sub_i32 s1, 0, s18
	v_rcp_iflag_f32_e32 v4, v4
	v_mul_f32_e32 v4, 0x4f7ffffe, v4
	v_cvt_u32_f32_e32 v4, v4
	v_mul_lo_u32 v7, s1, v4
	v_mul_hi_u32 v7, v4, v7
	v_add_nc_u32_e32 v4, v4, v7
	v_mul_hi_u32 v4, v5, v4
	v_mul_lo_u32 v7, v4, s18
	v_add_nc_u32_e32 v8, 1, v4
	v_sub_nc_u32_e32 v7, v5, v7
	v_subrev_nc_u32_e32 v9, s18, v7
	v_cmp_le_u32_e32 vcc_lo, s18, v7
	v_cndmask_b32_e32 v7, v7, v9, vcc_lo
	v_cndmask_b32_e32 v4, v4, v8, vcc_lo
	v_cmp_le_u32_e32 vcc_lo, s18, v7
	v_add_nc_u32_e32 v8, 1, v4
	v_cndmask_b32_e32 v7, v4, v8, vcc_lo
	v_mov_b32_e32 v8, v3
.LBB0_6:                                ;   in Loop: Header=BB0_2 Depth=1
	s_or_b32 exec_lo, exec_lo, s0
	s_load_dwordx2 s[0:1], s[6:7], 0x0
	v_mul_lo_u32 v4, v8, s18
	v_mul_lo_u32 v11, v7, s19
	v_mad_u64_u32 v[9:10], null, v7, s18, 0
	s_add_u32 s16, s16, 1
	s_addc_u32 s17, s17, 0
	s_add_u32 s6, s6, 8
	s_addc_u32 s7, s7, 0
	;; [unrolled: 2-line block ×3, first 2 shown]
	v_add3_u32 v4, v10, v11, v4
	v_sub_co_u32 v5, vcc_lo, v5, v9
	v_sub_co_ci_u32_e32 v4, vcc_lo, v6, v4, vcc_lo
	s_waitcnt lgkmcnt(0)
	v_mul_lo_u32 v6, s1, v5
	v_mul_lo_u32 v4, s0, v4
	v_mad_u64_u32 v[1:2], null, s0, v5, v[1:2]
	v_cmp_ge_u64_e64 s0, s[16:17], s[10:11]
	s_and_b32 vcc_lo, exec_lo, s0
	v_add3_u32 v2, v6, v2, v4
	s_cbranch_vccnz .LBB0_9
; %bb.7:                                ;   in Loop: Header=BB0_2 Depth=1
	v_mov_b32_e32 v5, v7
	v_mov_b32_e32 v6, v8
	s_branch .LBB0_2
.LBB0_8:
	v_mov_b32_e32 v8, v6
	v_mov_b32_e32 v7, v5
.LBB0_9:
	s_lshl_b64 s[0:1], s[10:11], 3
	v_mul_hi_u32 v5, 0x1381382, v0
	s_add_u32 s0, s12, s0
	s_addc_u32 s1, s13, s1
	s_load_dwordx2 s[0:1], s[0:1], 0x0
	s_load_dwordx2 s[4:5], s[4:5], 0x20
	s_waitcnt lgkmcnt(0)
	v_mul_lo_u32 v3, s0, v8
	v_mul_lo_u32 v4, s1, v7
	v_mad_u64_u32 v[1:2], null, s0, v7, v[1:2]
	v_cmp_gt_u64_e32 vcc_lo, s[4:5], v[7:8]
	v_add3_u32 v2, v4, v2, v3
	v_mul_u32_u24_e32 v3, 0xd2, v5
	v_lshlrev_b64 v[14:15], 3, v[1:2]
	v_sub_nc_u32_e32 v12, v0, v3
	s_and_saveexec_b32 s1, vcc_lo
	s_cbranch_execz .LBB0_13
; %bb.10:
	v_mov_b32_e32 v13, 0
	v_add_co_u32 v0, s0, s2, v14
	v_add_co_ci_u32_e64 v1, s0, s3, v15, s0
	v_lshlrev_b64 v[2:3], 3, v[12:13]
	v_lshl_add_u32 v20, v12, 3, 0
	s_mov_b32 s4, exec_lo
	v_add_nc_u32_e32 v21, 0xc00, v20
	v_add_co_u32 v2, s0, v0, v2
	v_add_co_ci_u32_e64 v3, s0, v1, v3, s0
	v_add_nc_u32_e32 v22, 0x1a00, v20
	v_add_co_u32 v4, s0, 0x800, v2
	v_add_co_ci_u32_e64 v5, s0, 0, v3, s0
	v_add_co_u32 v6, s0, 0x1000, v2
	v_add_co_ci_u32_e64 v7, s0, 0, v3, s0
	;; [unrolled: 2-line block ×4, first 2 shown]
	s_clause 0x6
	global_load_dwordx2 v[16:17], v[2:3], off
	global_load_dwordx2 v[2:3], v[2:3], off offset:1680
	global_load_dwordx2 v[4:5], v[4:5], off offset:1312
	;; [unrolled: 1-line block ×6, first 2 shown]
	s_waitcnt vmcnt(5)
	ds_write2_b64 v20, v[16:17], v[2:3] offset1:210
	s_waitcnt vmcnt(3)
	ds_write2_b64 v21, v[4:5], v[6:7] offset0:36 offset1:246
	s_waitcnt vmcnt(1)
	ds_write2_b64 v22, v[8:9], v[18:19] offset0:8 offset1:218
	s_waitcnt vmcnt(0)
	ds_write_b64 v20, v[10:11] offset:10080
	v_cmpx_eq_u32_e32 0xd1, v12
	s_cbranch_execz .LBB0_12
; %bb.11:
	v_add_co_u32 v0, s0, 0x2800, v0
	v_add_co_ci_u32_e64 v1, s0, 0, v1, s0
	v_mov_b32_e32 v12, 0xd1
	global_load_dwordx2 v[0:1], v[0:1], off offset:1520
	s_waitcnt vmcnt(0)
	ds_write_b64 v13, v[0:1] offset:11760
.LBB0_12:
	s_or_b32 exec_lo, exec_lo, s4
.LBB0_13:
	s_or_b32 exec_lo, exec_lo, s1
	v_lshlrev_b32_e32 v0, 3, v12
	s_waitcnt lgkmcnt(0)
	s_barrier
	buffer_gl0_inv
	s_add_u32 s1, s8, 0x2de0
	v_add_nc_u32_e32 v24, 0, v0
	v_sub_nc_u32_e32 v4, 0, v0
	s_addc_u32 s4, s9, 0
	s_mov_b32 s5, exec_lo
                                        ; implicit-def: $vgpr2_vgpr3
	ds_read_b32 v5, v24
	ds_read_b32 v6, v4 offset:11760
	s_waitcnt lgkmcnt(0)
	v_add_f32_e32 v0, v6, v5
	v_sub_f32_e32 v1, v5, v6
	v_cmpx_ne_u32_e32 0, v12
	s_xor_b32 s5, exec_lo, s5
	s_cbranch_execz .LBB0_15
; %bb.14:
	v_mov_b32_e32 v13, 0
	v_add_f32_e32 v7, v6, v5
	v_sub_f32_e32 v8, v5, v6
	v_lshlrev_b64 v[0:1], 3, v[12:13]
	v_add_co_u32 v0, s0, s1, v0
	v_add_co_ci_u32_e64 v1, s0, s4, v1, s0
	global_load_dwordx2 v[2:3], v[0:1], off
	ds_read_b32 v0, v4 offset:11764
	ds_read_b32 v1, v24 offset:4
	s_waitcnt lgkmcnt(0)
	v_add_f32_e32 v9, v0, v1
	v_sub_f32_e32 v0, v1, v0
	s_waitcnt vmcnt(0)
	v_fma_f32 v5, -v8, v3, v7
	v_fma_f32 v6, v9, v3, -v0
	v_fma_f32 v10, v8, v3, v7
	v_fma_f32 v1, v9, v3, v0
	v_fmac_f32_e32 v5, v2, v9
	v_fmac_f32_e32 v6, v8, v2
	v_fma_f32 v0, -v2, v9, v10
	v_fmac_f32_e32 v1, v8, v2
	v_mov_b32_e32 v2, v12
	v_mov_b32_e32 v3, v13
	ds_write_b64 v4, v[5:6] offset:11760
.LBB0_15:
	s_andn2_saveexec_b32 s0, s5
	s_cbranch_execz .LBB0_17
; %bb.16:
	v_mov_b32_e32 v7, 0
	ds_read_b64 v[2:3], v7 offset:5880
	s_waitcnt lgkmcnt(0)
	v_add_f32_e32 v5, v2, v2
	v_mul_f32_e32 v6, -2.0, v3
	v_mov_b32_e32 v2, 0
	v_mov_b32_e32 v3, 0
	ds_write_b64 v7, v[5:6] offset:5880
.LBB0_17:
	s_or_b32 exec_lo, exec_lo, s0
	v_lshlrev_b64 v[2:3], 3, v[2:3]
	ds_write_b64 v24, v[0:1]
	v_add_co_u32 v2, s0, s1, v2
	v_add_co_ci_u32_e64 v3, s0, s4, v3, s0
	v_add_co_u32 v7, s0, 0x800, v2
	global_load_dwordx2 v[5:6], v[2:3], off offset:1680
	v_add_co_ci_u32_e64 v8, s0, 0, v3, s0
	v_cmp_gt_u32_e64 s0, 0x69, v12
	global_load_dwordx2 v[7:8], v[7:8], off offset:1312
	ds_read_b64 v[0:1], v24 offset:1680
	ds_read_b64 v[9:10], v4 offset:10080
	s_waitcnt lgkmcnt(0)
	v_add_f32_e32 v11, v0, v9
	v_add_f32_e32 v13, v10, v1
	v_sub_f32_e32 v16, v0, v9
	v_sub_f32_e32 v0, v1, v10
	s_waitcnt vmcnt(1)
	v_fma_f32 v17, v16, v6, v11
	v_fma_f32 v1, v13, v6, v0
	v_fma_f32 v9, -v16, v6, v11
	v_fma_f32 v10, v13, v6, -v0
	v_fma_f32 v0, -v5, v13, v17
	v_fmac_f32_e32 v1, v16, v5
	v_fmac_f32_e32 v9, v5, v13
	;; [unrolled: 1-line block ×3, first 2 shown]
	ds_write_b64 v24, v[0:1] offset:1680
	ds_write_b64 v4, v[9:10] offset:10080
	ds_read_b64 v[0:1], v24 offset:3360
	ds_read_b64 v[5:6], v4 offset:8400
	s_waitcnt lgkmcnt(0)
	v_add_f32_e32 v9, v0, v5
	v_add_f32_e32 v10, v6, v1
	v_sub_f32_e32 v11, v0, v5
	v_sub_f32_e32 v0, v1, v6
	s_waitcnt vmcnt(0)
	v_fma_f32 v13, v11, v8, v9
	v_fma_f32 v1, v10, v8, v0
	v_fma_f32 v5, -v11, v8, v9
	v_fma_f32 v6, v10, v8, -v0
	v_fma_f32 v0, -v7, v10, v13
	v_fmac_f32_e32 v1, v11, v7
	v_fmac_f32_e32 v5, v7, v10
	;; [unrolled: 1-line block ×3, first 2 shown]
	ds_write_b64 v24, v[0:1] offset:3360
	ds_write_b64 v4, v[5:6] offset:8400
	s_and_saveexec_b32 s4, s0
	s_cbranch_execz .LBB0_19
; %bb.18:
	v_add_co_u32 v0, s1, 0x1000, v2
	v_add_co_ci_u32_e64 v1, s1, 0, v3, s1
	global_load_dwordx2 v[0:1], v[0:1], off offset:944
	ds_read_b64 v[2:3], v24 offset:5040
	ds_read_b64 v[5:6], v4 offset:6720
	s_waitcnt lgkmcnt(0)
	v_add_f32_e32 v7, v2, v5
	v_add_f32_e32 v8, v6, v3
	v_sub_f32_e32 v9, v2, v5
	v_sub_f32_e32 v3, v3, v6
	s_waitcnt vmcnt(0)
	v_fma_f32 v10, v9, v1, v7
	v_fma_f32 v2, v8, v1, v3
	v_fma_f32 v5, -v9, v1, v7
	v_fma_f32 v6, v8, v1, -v3
	v_fma_f32 v1, -v0, v8, v10
	v_fmac_f32_e32 v2, v9, v0
	v_fmac_f32_e32 v5, v0, v8
	;; [unrolled: 1-line block ×3, first 2 shown]
	ds_write_b64 v24, v[1:2] offset:5040
	ds_write_b64 v4, v[5:6] offset:6720
.LBB0_19:
	s_or_b32 exec_lo, exec_lo, s4
	v_add_nc_u32_e32 v4, 0x1600, v24
	v_add_nc_u32_e32 v8, 0xc00, v24
	v_add_nc_u32_e32 v13, 0x2400, v24
	s_waitcnt lgkmcnt(0)
	s_barrier
	buffer_gl0_inv
	s_barrier
	buffer_gl0_inv
	ds_read2_b64 v[0:3], v24 offset1:210
	ds_read2_b64 v[4:7], v4 offset0:31 offset1:241
	ds_read2_b64 v[8:11], v8 offset0:36 offset1:246
	;; [unrolled: 1-line block ×3, first 2 shown]
	v_add_nc_u32_e32 v13, 0xd2, v12
	v_add_nc_u32_e32 v22, 0x1a4, v12
	s_waitcnt lgkmcnt(0)
	s_barrier
	buffer_gl0_inv
	v_lshl_add_u32 v23, v22, 4, 0
	v_sub_f32_e32 v4, v0, v4
	v_sub_f32_e32 v5, v1, v5
	;; [unrolled: 1-line block ×8, first 2 shown]
	v_fma_f32 v0, v0, 2.0, -v4
	v_fma_f32 v1, v1, 2.0, -v5
	;; [unrolled: 1-line block ×4, first 2 shown]
	v_lshl_add_u32 v10, v12, 3, v24
	v_fma_f32 v2, v2, 2.0, -v6
	v_fma_f32 v3, v3, 2.0, -v7
	v_lshl_add_u32 v11, v13, 4, 0
	v_fma_f32 v8, v8, 2.0, -v20
	v_fma_f32 v9, v9, 2.0, -v21
	ds_write2_b64 v10, v[0:1], v[4:5] offset1:1
	ds_write2_b64 v11, v[2:3], v[6:7] offset1:1
	;; [unrolled: 1-line block ×3, first 2 shown]
	s_and_saveexec_b32 s1, s0
	s_cbranch_execz .LBB0_21
; %bb.20:
	v_lshlrev_b32_e32 v0, 4, v12
	v_add3_u32 v0, v0, 0, 0x2760
	ds_write2_b64 v0, v[16:17], v[18:19] offset1:1
.LBB0_21:
	s_or_b32 exec_lo, exec_lo, s1
	v_add_nc_u32_e32 v4, 0xe00, v24
	v_add_nc_u32_e32 v5, 0x1e00, v24
	s_waitcnt lgkmcnt(0)
	s_barrier
	buffer_gl0_inv
	ds_read2_b64 v[0:3], v24 offset1:210
	ds_read2_b64 v[8:11], v4 offset0:42 offset1:252
	ds_read2_b64 v[4:7], v5 offset0:20 offset1:230
	s_waitcnt lgkmcnt(2)
	ds_read_b32 v3, v24 offset:1684
	v_cmp_gt_u32_e64 s0, 0x46, v12
                                        ; implicit-def: $vgpr21
	s_and_saveexec_b32 s1, s0
	s_cbranch_execz .LBB0_23
; %bb.22:
	ds_read_b64 v[16:17], v24 offset:3360
	ds_read_b64 v[18:19], v24 offset:7280
	;; [unrolled: 1-line block ×3, first 2 shown]
.LBB0_23:
	s_or_b32 exec_lo, exec_lo, s1
	v_and_b32_e32 v23, 1, v12
	v_lshrrev_b32_e32 v29, 1, v12
	v_lshrrev_b32_e32 v30, 1, v13
	v_lshlrev_b32_e32 v25, 4, v23
	v_mul_u32_u24_e32 v29, 6, v29
	v_mul_u32_u24_e32 v30, 6, v30
	global_load_dwordx4 v[25:28], v25, s[8:9]
	v_or_b32_e32 v29, v29, v23
	v_or_b32_e32 v30, v30, v23
	s_waitcnt vmcnt(0) lgkmcnt(0)
	s_barrier
	buffer_gl0_inv
	v_lshl_add_u32 v29, v29, 3, 0
	v_lshl_add_u32 v30, v30, 3, 0
	v_mul_f32_e32 v31, v26, v9
	v_mul_f32_e32 v32, v26, v8
	v_mul_f32_e32 v33, v28, v5
	v_mul_f32_e32 v34, v28, v4
	v_mul_f32_e32 v35, v26, v11
	v_mul_f32_e32 v36, v26, v10
	v_mul_f32_e32 v37, v28, v7
	v_mul_f32_e32 v38, v28, v6
	v_mul_f32_e32 v39, v19, v26
	v_mul_f32_e32 v26, v18, v26
	v_mul_f32_e32 v40, v21, v28
	v_mul_f32_e32 v28, v20, v28
	v_fma_f32 v8, v25, v8, -v31
	v_fmac_f32_e32 v32, v25, v9
	v_fma_f32 v4, v27, v4, -v33
	v_fmac_f32_e32 v34, v27, v5
	;; [unrolled: 2-line block ×6, first 2 shown]
	v_add_f32_e32 v9, v8, v4
	v_sub_f32_e32 v19, v32, v34
	v_add_f32_e32 v11, v32, v1
	v_add_f32_e32 v20, v32, v34
	v_add_f32_e32 v27, v5, v10
	v_sub_f32_e32 v31, v36, v38
	v_add_f32_e32 v32, v3, v36
	v_add_f32_e32 v33, v36, v38
	;; [unrolled: 4-line block ×3, first 2 shown]
	v_add_f32_e32 v7, v8, v0
	v_sub_f32_e32 v21, v8, v4
	v_add_f32_e32 v25, v5, v2
	v_sub_f32_e32 v5, v5, v10
	;; [unrolled: 2-line block ×3, first 2 shown]
	v_fma_f32 v8, -0.5, v9, v0
	v_fma_f32 v9, -0.5, v20, v1
	v_fmac_f32_e32 v2, -0.5, v27
	v_fmac_f32_e32 v3, -0.5, v33
	v_fmac_f32_e32 v16, -0.5, v36
	v_fmac_f32_e32 v17, -0.5, v26
	v_add_f32_e32 v6, v7, v4
	v_add_f32_e32 v7, v11, v34
	;; [unrolled: 1-line block ×4, first 2 shown]
	v_fmamk_f32 v18, v19, 0x3f5db3d7, v8
	v_fmac_f32_e32 v8, 0xbf5db3d7, v19
	v_fmamk_f32 v19, v21, 0xbf5db3d7, v9
	v_fmac_f32_e32 v9, 0x3f5db3d7, v21
	v_fmamk_f32 v20, v31, 0x3f5db3d7, v2
	v_fmac_f32_e32 v2, 0xbf5db3d7, v31
	v_fmamk_f32 v21, v5, 0xbf5db3d7, v3
	v_fmac_f32_e32 v3, 0x3f5db3d7, v5
	v_fmamk_f32 v4, v37, 0x3f5db3d7, v16
	v_fmac_f32_e32 v16, 0xbf5db3d7, v37
	v_fmamk_f32 v5, v40, 0xbf5db3d7, v17
	v_fmac_f32_e32 v17, 0x3f5db3d7, v40
	v_add_f32_e32 v10, v25, v10
	v_add_f32_e32 v11, v32, v38
	ds_write2_b64 v29, v[6:7], v[18:19] offset1:2
	ds_write_b64 v29, v[8:9] offset:32
	ds_write2_b64 v30, v[10:11], v[20:21] offset1:2
	ds_write_b64 v30, v[2:3] offset:32
	s_and_saveexec_b32 s1, s0
	s_cbranch_execz .LBB0_25
; %bb.24:
	v_lshrrev_b32_e32 v6, 1, v22
	v_mul_u32_u24_e32 v6, 6, v6
	v_or_b32_e32 v6, v6, v23
	v_lshl_add_u32 v6, v6, 3, 0
	ds_write2_b64 v6, v[0:1], v[4:5] offset1:2
	ds_write_b64 v6, v[16:17] offset:32
.LBB0_25:
	s_or_b32 exec_lo, exec_lo, s1
	s_waitcnt lgkmcnt(0)
	s_barrier
	buffer_gl0_inv
	ds_read_b64 v[8:9], v24
	ds_read_b64 v[22:23], v24 offset:2352
	ds_read_b64 v[20:21], v24 offset:4704
	;; [unrolled: 1-line block ×4, first 2 shown]
	v_cmp_gt_u32_e64 s0, 0x54, v12
                                        ; implicit-def: $vgpr7
	s_and_saveexec_b32 s1, s0
	s_cbranch_execz .LBB0_27
; %bb.26:
	ds_read_b64 v[2:3], v24 offset:1680
	ds_read_b64 v[0:1], v24 offset:4032
	;; [unrolled: 1-line block ×5, first 2 shown]
.LBB0_27:
	s_or_b32 exec_lo, exec_lo, s1
	v_and_b32_e32 v26, 0xff, v12
	v_mov_b32_e32 v27, 5
	v_mov_b32_e32 v38, 0xf0
	v_mul_lo_u16 v25, 0xab, v26
	v_lshrrev_b16 v36, 10, v25
	v_mul_lo_u16 v25, v36, 6
	v_mul_u32_u24_sdwa v36, v36, v38 dst_sel:DWORD dst_unused:UNUSED_PAD src0_sel:WORD_0 src1_sel:DWORD
	v_sub_nc_u16 v37, v12, v25
	v_lshlrev_b32_sdwa v25, v27, v37 dst_sel:DWORD dst_unused:UNUSED_PAD src0_sel:DWORD src1_sel:BYTE_0
	s_clause 0x1
	global_load_dwordx4 v[28:31], v25, s[8:9] offset:32
	global_load_dwordx4 v[32:35], v25, s[8:9] offset:48
	v_mov_b32_e32 v25, 3
	s_waitcnt vmcnt(0) lgkmcnt(0)
	s_barrier
	buffer_gl0_inv
	v_lshlrev_b32_sdwa v37, v25, v37 dst_sel:DWORD dst_unused:UNUSED_PAD src0_sel:DWORD src1_sel:BYTE_0
	v_add3_u32 v36, 0, v36, v37
	v_mul_f32_e32 v37, v29, v23
	v_mul_f32_e32 v29, v29, v22
	;; [unrolled: 1-line block ×8, first 2 shown]
	v_fma_f32 v22, v28, v22, -v37
	v_fmac_f32_e32 v29, v28, v23
	v_fma_f32 v20, v30, v20, -v38
	v_fmac_f32_e32 v31, v30, v21
	v_fma_f32 v21, v32, v10, -v39
	v_fmac_f32_e32 v33, v32, v11
	v_fma_f32 v23, v34, v18, -v40
	v_fmac_f32_e32 v35, v34, v19
	v_add_f32_e32 v10, v8, v22
	v_add_f32_e32 v11, v20, v21
	v_sub_f32_e32 v18, v22, v20
	v_sub_f32_e32 v19, v23, v21
	v_add_f32_e32 v38, v9, v29
	v_add_f32_e32 v39, v31, v33
	;; [unrolled: 1-line block ×4, first 2 shown]
	v_sub_f32_e32 v28, v29, v35
	v_sub_f32_e32 v34, v20, v22
	;; [unrolled: 1-line block ×4, first 2 shown]
	v_add_f32_e32 v20, v10, v20
	v_fma_f32 v10, -0.5, v11, v8
	v_add_f32_e32 v45, v18, v19
	v_add_f32_e32 v19, v38, v31
	v_fma_f32 v11, -0.5, v39, v9
	v_sub_f32_e32 v30, v31, v33
	v_sub_f32_e32 v22, v29, v31
	;; [unrolled: 1-line block ×3, first 2 shown]
	v_fma_f32 v8, -0.5, v32, v8
	v_fmac_f32_e32 v9, -0.5, v43
	v_sub_f32_e32 v44, v33, v35
	v_fmamk_f32 v18, v28, 0x3f737871, v10
	v_add_f32_e32 v33, v19, v33
	v_fmamk_f32 v19, v40, 0xbf737871, v11
	v_sub_f32_e32 v37, v21, v23
	v_sub_f32_e32 v29, v31, v29
	v_add_f32_e32 v31, v22, v42
	v_add_f32_e32 v22, v20, v21
	v_fmamk_f32 v20, v30, 0xbf737871, v8
	v_fmac_f32_e32 v8, 0x3f737871, v30
	v_fmamk_f32 v21, v41, 0x3f737871, v9
	v_fmac_f32_e32 v9, 0xbf737871, v41
	v_fmac_f32_e32 v10, 0xbf737871, v28
	;; [unrolled: 1-line block ×5, first 2 shown]
	v_add_f32_e32 v32, v34, v37
	v_add_f32_e32 v29, v29, v44
	v_fmac_f32_e32 v20, 0x3f167918, v28
	v_fmac_f32_e32 v8, 0xbf167918, v28
	;; [unrolled: 1-line block ×6, first 2 shown]
	v_add_f32_e32 v22, v22, v23
	v_add_f32_e32 v23, v33, v35
	v_fmac_f32_e32 v18, 0x3e9e377a, v45
	v_fmac_f32_e32 v19, 0x3e9e377a, v31
	;; [unrolled: 1-line block ×8, first 2 shown]
	ds_write2_b64 v36, v[22:23], v[18:19] offset1:6
	ds_write2_b64 v36, v[20:21], v[8:9] offset0:12 offset1:18
	ds_write_b64 v36, v[10:11] offset:192
	s_and_saveexec_b32 s1, s0
	s_cbranch_execz .LBB0_29
; %bb.28:
	v_mov_b32_e32 v8, 0xaaab
	v_mul_u32_u24_sdwa v8, v13, v8 dst_sel:DWORD dst_unused:UNUSED_PAD src0_sel:WORD_0 src1_sel:DWORD
	v_lshrrev_b32_e32 v22, 18, v8
	v_mul_lo_u16 v8, v22, 6
	v_mul_lo_u16 v22, v22, 30
	v_sub_nc_u16 v13, v13, v8
	v_lshlrev_b32_sdwa v22, v25, v22 dst_sel:DWORD dst_unused:UNUSED_PAD src0_sel:DWORD src1_sel:WORD_0
	v_lshlrev_b32_sdwa v18, v27, v13 dst_sel:DWORD dst_unused:UNUSED_PAD src0_sel:DWORD src1_sel:WORD_0
	;; [unrolled: 1-line block ×3, first 2 shown]
	s_clause 0x1
	global_load_dwordx4 v[8:11], v18, s[8:9] offset:32
	global_load_dwordx4 v[18:21], v18, s[8:9] offset:48
	v_add3_u32 v13, 0, v13, v22
	s_waitcnt vmcnt(1)
	v_mul_f32_e32 v22, v0, v9
	v_mul_f32_e32 v23, v4, v11
	s_waitcnt vmcnt(0)
	v_mul_f32_e32 v27, v6, v21
	v_mul_f32_e32 v28, v16, v19
	v_mul_f32_e32 v9, v1, v9
	v_mul_f32_e32 v11, v5, v11
	v_mul_f32_e32 v19, v17, v19
	v_mul_f32_e32 v21, v7, v21
	v_fmac_f32_e32 v22, v1, v8
	v_fmac_f32_e32 v23, v5, v10
	;; [unrolled: 1-line block ×4, first 2 shown]
	v_fma_f32 v0, v0, v8, -v9
	v_fma_f32 v4, v4, v10, -v11
	;; [unrolled: 1-line block ×4, first 2 shown]
	v_sub_f32_e32 v1, v22, v23
	v_sub_f32_e32 v5, v27, v28
	v_add_f32_e32 v6, v23, v28
	v_add_f32_e32 v17, v4, v9
	v_sub_f32_e32 v18, v22, v27
	v_sub_f32_e32 v20, v23, v22
	v_add_f32_e32 v29, v22, v27
	v_add_f32_e32 v22, v3, v22
	;; [unrolled: 1-line block ×3, first 2 shown]
	v_sub_f32_e32 v10, v0, v8
	v_sub_f32_e32 v7, v0, v4
	;; [unrolled: 1-line block ×4, first 2 shown]
	v_add_f32_e32 v33, v2, v0
	v_add_f32_e32 v34, v1, v5
	v_fma_f32 v1, -0.5, v6, v3
	v_fma_f32 v0, -0.5, v17, v2
	v_sub_f32_e32 v11, v4, v9
	v_sub_f32_e32 v16, v8, v9
	;; [unrolled: 1-line block ×3, first 2 shown]
	v_fma_f32 v3, -0.5, v29, v3
	v_add_f32_e32 v6, v22, v23
	v_fma_f32 v2, -0.5, v32, v2
	v_add_f32_e32 v17, v20, v21
	v_add_f32_e32 v21, v33, v4
	v_fmamk_f32 v5, v10, 0xbf737871, v1
	v_fmamk_f32 v4, v18, 0x3f737871, v0
	v_sub_f32_e32 v31, v9, v8
	v_add_f32_e32 v16, v7, v16
	v_fmamk_f32 v7, v11, 0xbf737871, v3
	v_fmac_f32_e32 v3, 0x3f737871, v11
	v_add_f32_e32 v22, v6, v28
	v_fmamk_f32 v6, v19, 0x3f737871, v2
	v_fmac_f32_e32 v2, 0xbf737871, v19
	v_fmac_f32_e32 v1, 0x3f737871, v10
	;; [unrolled: 1-line block ×3, first 2 shown]
	v_add_f32_e32 v21, v21, v9
	v_fmac_f32_e32 v5, 0xbf167918, v11
	v_fmac_f32_e32 v4, 0x3f167918, v19
	v_add_f32_e32 v20, v30, v31
	v_fmac_f32_e32 v7, 0x3f167918, v10
	v_fmac_f32_e32 v3, 0xbf167918, v10
	;; [unrolled: 1-line block ×6, first 2 shown]
	v_add_f32_e32 v9, v22, v27
	v_add_f32_e32 v8, v21, v8
	v_fmac_f32_e32 v5, 0x3e9e377a, v34
	v_fmac_f32_e32 v4, 0x3e9e377a, v16
	;; [unrolled: 1-line block ×8, first 2 shown]
	ds_write2_b64 v13, v[8:9], v[4:5] offset1:6
	ds_write2_b64 v13, v[2:3], v[6:7] offset0:12 offset1:18
	ds_write_b64 v13, v[0:1] offset:192
.LBB0_29:
	s_or_b32 exec_lo, exec_lo, s1
	v_mul_lo_u16 v0, 0x89, v26
	v_mov_b32_e32 v1, 6
	s_waitcnt lgkmcnt(0)
	s_barrier
	buffer_gl0_inv
	v_lshrrev_b16 v13, 12, v0
	v_mov_b32_e32 v35, 0x690
	v_mul_u32_u24_e32 v36, 6, v12
	v_mul_lo_u16 v0, v13, 30
	v_mul_u32_u24_sdwa v13, v13, v35 dst_sel:DWORD dst_unused:UNUSED_PAD src0_sel:WORD_0 src1_sel:DWORD
	v_sub_nc_u16 v34, v12, v0
	v_mul_u32_u24_sdwa v0, v34, v1 dst_sel:DWORD dst_unused:UNUSED_PAD src0_sel:BYTE_0 src1_sel:DWORD
	v_add_nc_u32_e32 v1, 0xc00, v24
	v_lshlrev_b32_sdwa v25, v25, v34 dst_sel:DWORD dst_unused:UNUSED_PAD src0_sel:DWORD src1_sel:BYTE_0
	v_lshlrev_b32_e32 v34, 3, v36
	v_lshlrev_b32_e32 v0, 3, v0
	s_clause 0x2
	global_load_dwordx4 v[2:5], v0, s[8:9] offset:224
	global_load_dwordx4 v[6:9], v0, s[8:9] offset:240
	;; [unrolled: 1-line block ×3, first 2 shown]
	v_add_nc_u32_e32 v0, 0x1a00, v24
	ds_read2_b64 v[20:23], v24 offset1:210
	ds_read2_b64 v[26:29], v1 offset0:36 offset1:246
	v_add3_u32 v13, 0, v13, v25
	ds_read2_b64 v[30:33], v0 offset0:8 offset1:218
	ds_read_b64 v[10:11], v24 offset:10080
	s_waitcnt vmcnt(0) lgkmcnt(0)
	s_barrier
	buffer_gl0_inv
	v_mul_f32_e32 v25, v3, v23
	v_mul_f32_e32 v3, v3, v22
	;; [unrolled: 1-line block ×12, first 2 shown]
	v_fma_f32 v22, v2, v22, -v25
	v_fmac_f32_e32 v3, v2, v23
	v_fma_f32 v2, v4, v26, -v35
	v_fmac_f32_e32 v5, v4, v27
	;; [unrolled: 2-line block ×3, first 2 shown]
	v_fma_f32 v6, v8, v30, -v37
	v_fma_f32 v10, v18, v10, -v39
	v_fmac_f32_e32 v19, v18, v11
	v_fmac_f32_e32 v9, v8, v31
	v_fma_f32 v8, v16, v32, -v38
	v_fmac_f32_e32 v17, v16, v33
	v_add_f32_e32 v11, v22, v10
	v_add_f32_e32 v16, v3, v19
	v_sub_f32_e32 v3, v3, v19
	v_add_f32_e32 v18, v2, v8
	v_add_f32_e32 v19, v5, v17
	v_sub_f32_e32 v10, v22, v10
	v_sub_f32_e32 v2, v2, v8
	;; [unrolled: 1-line block ×3, first 2 shown]
	v_add_f32_e32 v8, v4, v6
	v_add_f32_e32 v17, v7, v9
	v_sub_f32_e32 v4, v6, v4
	v_sub_f32_e32 v6, v9, v7
	v_add_f32_e32 v7, v18, v11
	v_add_f32_e32 v9, v19, v16
	v_sub_f32_e32 v22, v18, v11
	v_sub_f32_e32 v23, v19, v16
	;; [unrolled: 1-line block ×6, first 2 shown]
	v_add_f32_e32 v25, v4, v2
	v_add_f32_e32 v26, v6, v5
	v_sub_f32_e32 v27, v4, v2
	v_sub_f32_e32 v28, v6, v5
	;; [unrolled: 1-line block ×3, first 2 shown]
	v_add_f32_e32 v7, v8, v7
	v_add_f32_e32 v8, v17, v9
	v_sub_f32_e32 v5, v5, v3
	v_sub_f32_e32 v4, v10, v4
	;; [unrolled: 1-line block ×3, first 2 shown]
	v_add_f32_e32 v9, v25, v10
	v_add_f32_e32 v10, v26, v3
	v_mul_f32_e32 v11, 0x3f4a47b2, v11
	v_mul_f32_e32 v16, 0x3f4a47b2, v16
	;; [unrolled: 1-line block ×7, first 2 shown]
	v_add_f32_e32 v2, v7, v20
	v_add_f32_e32 v3, v8, v21
	v_mul_f32_e32 v30, 0x3f5ff5aa, v5
	v_fmamk_f32 v18, v18, 0x3d64c772, v11
	v_fmamk_f32 v19, v19, 0x3d64c772, v16
	v_fma_f32 v17, 0x3f3bfb3b, v22, -v17
	v_fma_f32 v20, 0x3f3bfb3b, v23, -v25
	v_fma_f32 v11, 0xbf3bfb3b, v22, -v11
	v_fma_f32 v16, 0xbf3bfb3b, v23, -v16
	v_fmamk_f32 v21, v4, 0x3eae86e6, v26
	v_fmamk_f32 v22, v6, 0x3eae86e6, v27
	v_fma_f32 v23, 0x3f5ff5aa, v29, -v26
	v_fma_f32 v25, 0x3f5ff5aa, v5, -v27
	;; [unrolled: 1-line block ×3, first 2 shown]
	v_fmamk_f32 v4, v7, 0xbf955555, v2
	v_fmamk_f32 v5, v8, 0xbf955555, v3
	v_fma_f32 v27, 0xbeae86e6, v6, -v30
	v_fmac_f32_e32 v21, 0x3ee1c552, v9
	v_fmac_f32_e32 v22, 0x3ee1c552, v10
	v_add_f32_e32 v18, v18, v4
	v_add_f32_e32 v19, v19, v5
	v_fmac_f32_e32 v23, 0x3ee1c552, v9
	v_fmac_f32_e32 v25, 0x3ee1c552, v10
	v_fmac_f32_e32 v26, 0x3ee1c552, v9
	v_fmac_f32_e32 v27, 0x3ee1c552, v10
	v_add_f32_e32 v10, v17, v4
	v_add_f32_e32 v17, v11, v4
	;; [unrolled: 1-line block ×5, first 2 shown]
	v_sub_f32_e32 v5, v19, v21
	v_add_f32_e32 v6, v27, v17
	v_sub_f32_e32 v7, v28, v26
	v_sub_f32_e32 v8, v10, v25
	v_add_f32_e32 v9, v23, v11
	v_add_f32_e32 v10, v25, v10
	v_sub_f32_e32 v11, v11, v23
	v_sub_f32_e32 v16, v17, v27
	v_add_f32_e32 v17, v26, v28
	v_sub_f32_e32 v18, v18, v22
	v_add_f32_e32 v19, v21, v19
	ds_write2_b64 v13, v[2:3], v[4:5] offset1:30
	ds_write2_b64 v13, v[6:7], v[8:9] offset0:60 offset1:90
	ds_write2_b64 v13, v[10:11], v[16:17] offset0:120 offset1:150
	ds_write_b64 v13, v[18:19] offset:1440
	s_waitcnt lgkmcnt(0)
	s_barrier
	buffer_gl0_inv
	s_clause 0x2
	global_load_dwordx4 v[2:5], v34, s[8:9] offset:1664
	global_load_dwordx4 v[6:9], v34, s[8:9] offset:1680
	;; [unrolled: 1-line block ×3, first 2 shown]
	ds_read2_b64 v[20:23], v24 offset1:210
	ds_read2_b64 v[25:28], v1 offset0:36 offset1:246
	ds_read2_b64 v[29:32], v0 offset0:8 offset1:218
	ds_read_b64 v[10:11], v24 offset:10080
	s_waitcnt vmcnt(0) lgkmcnt(0)
	s_barrier
	buffer_gl0_inv
	v_mul_f32_e32 v13, v3, v23
	v_mul_f32_e32 v3, v3, v22
	v_mul_f32_e32 v33, v5, v26
	v_mul_f32_e32 v5, v5, v25
	v_mul_f32_e32 v34, v7, v28
	v_mul_f32_e32 v7, v7, v27
	v_mul_f32_e32 v35, v9, v30
	v_mul_f32_e32 v9, v9, v29
	v_mul_f32_e32 v36, v17, v32
	v_mul_f32_e32 v17, v17, v31
	v_mul_f32_e32 v37, v19, v11
	v_mul_f32_e32 v19, v19, v10
	v_fma_f32 v13, v2, v22, -v13
	v_fmac_f32_e32 v3, v2, v23
	v_fma_f32 v2, v4, v25, -v33
	v_fmac_f32_e32 v5, v4, v26
	v_fma_f32 v4, v6, v27, -v34
	v_fmac_f32_e32 v7, v6, v28
	v_fma_f32 v6, v8, v29, -v35
	v_fma_f32 v10, v18, v10, -v37
	v_fmac_f32_e32 v19, v18, v11
	v_fmac_f32_e32 v9, v8, v30
	v_fma_f32 v8, v16, v31, -v36
	v_fmac_f32_e32 v17, v16, v32
	v_add_f32_e32 v11, v13, v10
	v_add_f32_e32 v16, v3, v19
	v_sub_f32_e32 v10, v13, v10
	v_add_f32_e32 v13, v2, v8
	v_add_f32_e32 v18, v5, v17
	v_sub_f32_e32 v2, v2, v8
	v_sub_f32_e32 v5, v5, v17
	v_add_f32_e32 v8, v4, v6
	v_add_f32_e32 v17, v7, v9
	v_sub_f32_e32 v4, v6, v4
	;; [unrolled: 4-line block ×3, first 2 shown]
	v_sub_f32_e32 v19, v13, v11
	v_sub_f32_e32 v22, v18, v16
	;; [unrolled: 1-line block ×6, first 2 shown]
	v_add_f32_e32 v23, v4, v2
	v_add_f32_e32 v25, v6, v5
	v_sub_f32_e32 v26, v4, v2
	v_sub_f32_e32 v27, v6, v5
	;; [unrolled: 1-line block ×3, first 2 shown]
	v_add_f32_e32 v7, v8, v7
	v_add_f32_e32 v8, v17, v9
	v_sub_f32_e32 v5, v5, v3
	v_sub_f32_e32 v4, v10, v4
	;; [unrolled: 1-line block ×3, first 2 shown]
	v_add_f32_e32 v9, v23, v10
	v_add_f32_e32 v10, v25, v3
	v_mul_f32_e32 v11, 0x3f4a47b2, v11
	v_mul_f32_e32 v16, 0x3f4a47b2, v16
	v_mul_f32_e32 v17, 0x3d64c772, v13
	v_mul_f32_e32 v23, 0x3d64c772, v18
	v_mul_f32_e32 v25, 0xbf08b237, v26
	v_mul_f32_e32 v26, 0xbf08b237, v27
	v_mul_f32_e32 v27, 0x3f5ff5aa, v28
	v_add_f32_e32 v2, v7, v20
	v_add_f32_e32 v3, v8, v21
	v_mul_f32_e32 v29, 0x3f5ff5aa, v5
	v_fmamk_f32 v13, v13, 0x3d64c772, v11
	v_fmamk_f32 v18, v18, 0x3d64c772, v16
	v_fma_f32 v17, 0x3f3bfb3b, v19, -v17
	v_fma_f32 v20, 0x3f3bfb3b, v22, -v23
	v_fma_f32 v11, 0xbf3bfb3b, v19, -v11
	v_fma_f32 v16, 0xbf3bfb3b, v22, -v16
	v_fmamk_f32 v19, v4, 0x3eae86e6, v25
	v_fmamk_f32 v21, v6, 0x3eae86e6, v26
	v_fma_f32 v22, 0x3f5ff5aa, v28, -v25
	v_fma_f32 v23, 0x3f5ff5aa, v5, -v26
	v_fma_f32 v25, 0xbeae86e6, v4, -v27
	v_fmamk_f32 v4, v7, 0xbf955555, v2
	v_fmamk_f32 v5, v8, 0xbf955555, v3
	v_fma_f32 v26, 0xbeae86e6, v6, -v29
	v_fmac_f32_e32 v19, 0x3ee1c552, v9
	v_fmac_f32_e32 v21, 0x3ee1c552, v10
	v_add_f32_e32 v13, v13, v4
	v_add_f32_e32 v27, v18, v5
	v_fmac_f32_e32 v22, 0x3ee1c552, v9
	v_fmac_f32_e32 v23, 0x3ee1c552, v10
	;; [unrolled: 1-line block ×4, first 2 shown]
	v_add_f32_e32 v10, v17, v4
	v_add_f32_e32 v17, v11, v4
	;; [unrolled: 1-line block ×5, first 2 shown]
	v_sub_f32_e32 v5, v27, v19
	v_add_f32_e32 v6, v26, v17
	v_sub_f32_e32 v7, v18, v25
	v_sub_f32_e32 v8, v10, v23
	v_add_f32_e32 v9, v22, v11
	v_add_f32_e32 v10, v23, v10
	v_sub_f32_e32 v11, v11, v22
	v_sub_f32_e32 v16, v17, v26
	v_add_f32_e32 v17, v25, v18
	v_sub_f32_e32 v18, v13, v21
	v_add_f32_e32 v19, v19, v27
	ds_write2_b64 v24, v[2:3], v[4:5] offset1:210
	ds_write2_b64 v1, v[6:7], v[8:9] offset0:36 offset1:246
	ds_write2_b64 v0, v[10:11], v[16:17] offset0:8 offset1:218
	ds_write_b64 v24, v[18:19] offset:10080
	s_waitcnt lgkmcnt(0)
	s_barrier
	buffer_gl0_inv
	s_and_saveexec_b32 s0, vcc_lo
	s_cbranch_execz .LBB0_31
; %bb.30:
	v_lshl_add_u32 v18, v12, 3, 0
	v_mov_b32_e32 v13, 0
	v_add_nc_u32_e32 v4, 0xd2, v12
	v_add_co_u32 v20, vcc_lo, s2, v14
	ds_read2_b64 v[0:3], v18 offset1:210
	v_mov_b32_e32 v5, v13
	v_lshlrev_b64 v[6:7], 3, v[12:13]
	v_add_co_ci_u32_e32 v21, vcc_lo, s3, v15, vcc_lo
	v_add_nc_u32_e32 v16, 0xc00, v18
	v_lshlrev_b64 v[4:5], 3, v[4:5]
	v_add_nc_u32_e32 v8, 0x1a4, v12
	v_add_co_u32 v10, vcc_lo, v20, v6
	v_add_co_ci_u32_e32 v11, vcc_lo, v21, v7, vcc_lo
	v_add_co_u32 v14, vcc_lo, v20, v4
	v_add_co_ci_u32_e32 v15, vcc_lo, v21, v5, vcc_lo
	v_mov_b32_e32 v9, v13
	ds_read2_b64 v[4:7], v16 offset0:36 offset1:246
	v_add_nc_u32_e32 v16, 0x41a, v12
	v_mov_b32_e32 v17, v13
	s_waitcnt lgkmcnt(1)
	global_store_dwordx2 v[10:11], v[0:1], off
	global_store_dwordx2 v[14:15], v[2:3], off
	v_add_nc_u32_e32 v0, 0x276, v12
	v_mov_b32_e32 v1, v13
	v_add_nc_u32_e32 v2, 0x1a00, v18
	v_lshlrev_b64 v[8:9], 3, v[8:9]
	v_add_nc_u32_e32 v10, 0x348, v12
	v_mov_b32_e32 v11, v13
	v_lshlrev_b64 v[14:15], 3, v[0:1]
	ds_read2_b64 v[0:3], v2 offset0:8 offset1:218
	ds_read_b64 v[18:19], v18 offset:10080
	v_add_co_u32 v8, vcc_lo, v20, v8
	v_lshlrev_b64 v[10:11], 3, v[10:11]
	v_add_nc_u32_e32 v12, 0x4ec, v12
	v_add_co_ci_u32_e32 v9, vcc_lo, v21, v9, vcc_lo
	v_add_co_u32 v14, vcc_lo, v20, v14
	v_lshlrev_b64 v[16:17], 3, v[16:17]
	v_add_co_ci_u32_e32 v15, vcc_lo, v21, v15, vcc_lo
	v_add_co_u32 v10, vcc_lo, v20, v10
	v_lshlrev_b64 v[12:13], 3, v[12:13]
	v_add_co_ci_u32_e32 v11, vcc_lo, v21, v11, vcc_lo
	v_add_co_u32 v16, vcc_lo, v20, v16
	v_add_co_ci_u32_e32 v17, vcc_lo, v21, v17, vcc_lo
	v_add_co_u32 v12, vcc_lo, v20, v12
	v_add_co_ci_u32_e32 v13, vcc_lo, v21, v13, vcc_lo
	s_waitcnt lgkmcnt(2)
	global_store_dwordx2 v[8:9], v[4:5], off
	global_store_dwordx2 v[14:15], v[6:7], off
	s_waitcnt lgkmcnt(1)
	global_store_dwordx2 v[10:11], v[0:1], off
	global_store_dwordx2 v[16:17], v[2:3], off
	s_waitcnt lgkmcnt(0)
	global_store_dwordx2 v[12:13], v[18:19], off
.LBB0_31:
	s_endpgm
	.section	.rodata,"a",@progbits
	.p2align	6, 0x0
	.amdhsa_kernel fft_rtc_fwd_len1470_factors_2_3_5_7_7_wgs_210_tpt_210_halfLds_sp_ip_CI_unitstride_sbrr_C2R_dirReg
		.amdhsa_group_segment_fixed_size 0
		.amdhsa_private_segment_fixed_size 0
		.amdhsa_kernarg_size 88
		.amdhsa_user_sgpr_count 6
		.amdhsa_user_sgpr_private_segment_buffer 1
		.amdhsa_user_sgpr_dispatch_ptr 0
		.amdhsa_user_sgpr_queue_ptr 0
		.amdhsa_user_sgpr_kernarg_segment_ptr 1
		.amdhsa_user_sgpr_dispatch_id 0
		.amdhsa_user_sgpr_flat_scratch_init 0
		.amdhsa_user_sgpr_private_segment_size 0
		.amdhsa_wavefront_size32 1
		.amdhsa_uses_dynamic_stack 0
		.amdhsa_system_sgpr_private_segment_wavefront_offset 0
		.amdhsa_system_sgpr_workgroup_id_x 1
		.amdhsa_system_sgpr_workgroup_id_y 0
		.amdhsa_system_sgpr_workgroup_id_z 0
		.amdhsa_system_sgpr_workgroup_info 0
		.amdhsa_system_vgpr_workitem_id 0
		.amdhsa_next_free_vgpr 46
		.amdhsa_next_free_sgpr 21
		.amdhsa_reserve_vcc 1
		.amdhsa_reserve_flat_scratch 0
		.amdhsa_float_round_mode_32 0
		.amdhsa_float_round_mode_16_64 0
		.amdhsa_float_denorm_mode_32 3
		.amdhsa_float_denorm_mode_16_64 3
		.amdhsa_dx10_clamp 1
		.amdhsa_ieee_mode 1
		.amdhsa_fp16_overflow 0
		.amdhsa_workgroup_processor_mode 1
		.amdhsa_memory_ordered 1
		.amdhsa_forward_progress 0
		.amdhsa_shared_vgpr_count 0
		.amdhsa_exception_fp_ieee_invalid_op 0
		.amdhsa_exception_fp_denorm_src 0
		.amdhsa_exception_fp_ieee_div_zero 0
		.amdhsa_exception_fp_ieee_overflow 0
		.amdhsa_exception_fp_ieee_underflow 0
		.amdhsa_exception_fp_ieee_inexact 0
		.amdhsa_exception_int_div_zero 0
	.end_amdhsa_kernel
	.text
.Lfunc_end0:
	.size	fft_rtc_fwd_len1470_factors_2_3_5_7_7_wgs_210_tpt_210_halfLds_sp_ip_CI_unitstride_sbrr_C2R_dirReg, .Lfunc_end0-fft_rtc_fwd_len1470_factors_2_3_5_7_7_wgs_210_tpt_210_halfLds_sp_ip_CI_unitstride_sbrr_C2R_dirReg
                                        ; -- End function
	.section	.AMDGPU.csdata,"",@progbits
; Kernel info:
; codeLenInByte = 6252
; NumSgprs: 23
; NumVgprs: 46
; ScratchSize: 0
; MemoryBound: 0
; FloatMode: 240
; IeeeMode: 1
; LDSByteSize: 0 bytes/workgroup (compile time only)
; SGPRBlocks: 2
; VGPRBlocks: 5
; NumSGPRsForWavesPerEU: 23
; NumVGPRsForWavesPerEU: 46
; Occupancy: 16
; WaveLimiterHint : 1
; COMPUTE_PGM_RSRC2:SCRATCH_EN: 0
; COMPUTE_PGM_RSRC2:USER_SGPR: 6
; COMPUTE_PGM_RSRC2:TRAP_HANDLER: 0
; COMPUTE_PGM_RSRC2:TGID_X_EN: 1
; COMPUTE_PGM_RSRC2:TGID_Y_EN: 0
; COMPUTE_PGM_RSRC2:TGID_Z_EN: 0
; COMPUTE_PGM_RSRC2:TIDIG_COMP_CNT: 0
	.text
	.p2alignl 6, 3214868480
	.fill 48, 4, 3214868480
	.type	__hip_cuid_996ecedd92b91889,@object ; @__hip_cuid_996ecedd92b91889
	.section	.bss,"aw",@nobits
	.globl	__hip_cuid_996ecedd92b91889
__hip_cuid_996ecedd92b91889:
	.byte	0                               ; 0x0
	.size	__hip_cuid_996ecedd92b91889, 1

	.ident	"AMD clang version 19.0.0git (https://github.com/RadeonOpenCompute/llvm-project roc-6.4.0 25133 c7fe45cf4b819c5991fe208aaa96edf142730f1d)"
	.section	".note.GNU-stack","",@progbits
	.addrsig
	.addrsig_sym __hip_cuid_996ecedd92b91889
	.amdgpu_metadata
---
amdhsa.kernels:
  - .args:
      - .actual_access:  read_only
        .address_space:  global
        .offset:         0
        .size:           8
        .value_kind:     global_buffer
      - .offset:         8
        .size:           8
        .value_kind:     by_value
      - .actual_access:  read_only
        .address_space:  global
        .offset:         16
        .size:           8
        .value_kind:     global_buffer
      - .actual_access:  read_only
        .address_space:  global
        .offset:         24
        .size:           8
        .value_kind:     global_buffer
      - .offset:         32
        .size:           8
        .value_kind:     by_value
      - .actual_access:  read_only
        .address_space:  global
        .offset:         40
        .size:           8
        .value_kind:     global_buffer
      - .actual_access:  read_only
        .address_space:  global
        .offset:         48
        .size:           8
        .value_kind:     global_buffer
      - .offset:         56
        .size:           4
        .value_kind:     by_value
      - .actual_access:  read_only
        .address_space:  global
        .offset:         64
        .size:           8
        .value_kind:     global_buffer
      - .actual_access:  read_only
        .address_space:  global
        .offset:         72
        .size:           8
        .value_kind:     global_buffer
      - .address_space:  global
        .offset:         80
        .size:           8
        .value_kind:     global_buffer
    .group_segment_fixed_size: 0
    .kernarg_segment_align: 8
    .kernarg_segment_size: 88
    .language:       OpenCL C
    .language_version:
      - 2
      - 0
    .max_flat_workgroup_size: 210
    .name:           fft_rtc_fwd_len1470_factors_2_3_5_7_7_wgs_210_tpt_210_halfLds_sp_ip_CI_unitstride_sbrr_C2R_dirReg
    .private_segment_fixed_size: 0
    .sgpr_count:     23
    .sgpr_spill_count: 0
    .symbol:         fft_rtc_fwd_len1470_factors_2_3_5_7_7_wgs_210_tpt_210_halfLds_sp_ip_CI_unitstride_sbrr_C2R_dirReg.kd
    .uniform_work_group_size: 1
    .uses_dynamic_stack: false
    .vgpr_count:     46
    .vgpr_spill_count: 0
    .wavefront_size: 32
    .workgroup_processor_mode: 1
amdhsa.target:   amdgcn-amd-amdhsa--gfx1030
amdhsa.version:
  - 1
  - 2
...

	.end_amdgpu_metadata
